;; amdgpu-corpus repo=llvm/llvm-project kind=harvested arch=n/a opt=n/a
// NOTE: Assertions have been autogenerated by utils/update_mc_test_checks.py UTC_ARGS: --unique --sort --version 6
// RUN: not llvm-mc -triple=amdgcn -mcpu=gfx950 %s -filetype=null 2>&1 | FileCheck --check-prefix=GFX950 --implicit-check-not=error: %s

buffer_atomic_pk_add_bf16 v5, off, s[8:11], s3 offset:4095 dlc
// GFX950: :[[@LINE-1]]:60: error: invalid operand for instruction

buffer_atomic_pk_add_bf16 v5, off, s[8:11], s3 offset:4095 glc
// GFX950: :[[@LINE-1]]:60: error: invalid operand for instruction

buffer_atomic_pk_add_bf16 v5, off, s[8:11], s3 offset:4095 glc slc dlc
// GFX950: :[[@LINE-1]]:60: error: invalid operand for instruction

buffer_atomic_pk_add_bf16 v5, off, s[8:11], s3 offset:4095 slc
// GFX950: :[[@LINE-1]]:60: error: invalid operand for instruction

v_cvt_scalef32_2xpk16_bf6_f32 v[0:5], s[0:15], v[6:21], v16
// GFX950: :[[@LINE-1]]:39: error: invalid operand for instruction

v_cvt_scalef32_2xpk16_bf6_f32 v[0:5], v[6:21], s[0:15], v16
// GFX950: :[[@LINE-1]]:48: error: invalid operand for instruction

v_cvt_scalef32_2xpk16_bf6_f32 v[20:25], v[10:25], v[10:25], v6 clamp
// GFX950: :[[@LINE-1]]:64: error: invalid operand for instruction

v_cvt_scalef32_2xpk16_bf6_f32 v[20:25], v[10:25], v[10:25], v6 clamp div:2
// GFX950: :[[@LINE-1]]:70: error: not a valid operand.

v_cvt_scalef32_2xpk16_bf6_f32 v[20:25], v[10:25], v[10:25], v6 div:2
// GFX950: :[[@LINE-1]]:64: error: not a valid operand.

v_cvt_scalef32_2xpk16_bf6_f32 v[20:25], v[10:25], v[10:25], v6 mul:2
// GFX950: :[[@LINE-1]]:64: error: not a valid operand.

v_cvt_scalef32_2xpk16_fp6_f32 v[0:5], s[0:15], v[6:21], v16
// GFX950: :[[@LINE-1]]:39: error: invalid operand for instruction

v_cvt_scalef32_2xpk16_fp6_f32 v[0:5], v[6:21], s[0:15], v16
// GFX950: :[[@LINE-1]]:48: error: invalid operand for instruction

v_cvt_scalef32_2xpk16_fp6_f32 v[20:25], v[10:25], v[10:25], v6 clamp
// GFX950: :[[@LINE-1]]:64: error: invalid operand for instruction

v_cvt_scalef32_2xpk16_fp6_f32 v[20:25], v[10:25], v[10:25], v6 clamp div:2
// GFX950: :[[@LINE-1]]:70: error: not a valid operand.

v_cvt_scalef32_2xpk16_fp6_f32 v[20:25], v[10:25], v[10:25], v6 div:2
// GFX950: :[[@LINE-1]]:64: error: not a valid operand.

v_cvt_scalef32_2xpk16_fp6_f32 v[20:25], v[10:25], v[10:25], v6 mul:2
// GFX950: :[[@LINE-1]]:64: error: not a valid operand.

v_cvt_scalef32_pk32_bf16_bf6 v[0:15], s[20:25], v8
// GFX950: :[[@LINE-1]]:39: error: invalid operand for instruction

v_cvt_scalef32_pk32_bf16_bf6 v[10:25], v[20:25], v8 clamp
// GFX950: :[[@LINE-1]]:53: error: invalid operand for instruction

v_cvt_scalef32_pk32_bf16_bf6 v[10:25], v[20:25], v8 clamp div:2
// GFX950: :[[@LINE-1]]:59: error: not a valid operand.

v_cvt_scalef32_pk32_bf16_bf6 v[10:25], v[20:25], v8 div:2
// GFX950: :[[@LINE-1]]:53: error: not a valid operand.

v_cvt_scalef32_pk32_bf16_bf6 v[10:25], v[20:25], v8 mul:2
// GFX950: :[[@LINE-1]]:53: error: not a valid operand.

v_cvt_scalef32_pk32_bf16_fp6 v[0:15], s[20:25], v8
// GFX950: :[[@LINE-1]]:39: error: invalid operand for instruction

v_cvt_scalef32_pk32_bf16_fp6 v[10:25], v[20:25], v8 clamp
// GFX950: :[[@LINE-1]]:53: error: invalid operand for instruction

v_cvt_scalef32_pk32_bf16_fp6 v[10:25], v[20:25], v8 clamp div:2
// GFX950: :[[@LINE-1]]:59: error: not a valid operand.

v_cvt_scalef32_pk32_bf16_fp6 v[10:25], v[20:25], v8 div:2
// GFX950: :[[@LINE-1]]:53: error: not a valid operand.

v_cvt_scalef32_pk32_bf16_fp6 v[10:25], v[20:25], v8 mul:2
// GFX950: :[[@LINE-1]]:53: error: not a valid operand.

v_cvt_scalef32_pk32_bf6_bf16 v[18:23], s[0:15], v16
// GFX950: :[[@LINE-1]]:40: error: invalid operand for instruction

v_cvt_scalef32_pk32_bf6_f16 v[18:23], s[0:15], v16
// GFX950: :[[@LINE-1]]:39: error: invalid operand for instruction

v_cvt_scalef32_pk32_bf6_f16 v[20:25], v[10:25], v8 clamp
// GFX950: :[[@LINE-1]]:52: error: invalid operand for instruction

v_cvt_scalef32_pk32_bf6_f16 v[20:25], v[10:25], v8 clamp div:2
// GFX950: :[[@LINE-1]]:58: error: not a valid operand.

v_cvt_scalef32_pk32_bf6_f16 v[20:25], v[10:25], v8 div:2
// GFX950: :[[@LINE-1]]:52: error: not a valid operand.

v_cvt_scalef32_pk32_bf6_f16 v[20:25], v[10:25], v8 mul:2
// GFX950: :[[@LINE-1]]:52: error: not a valid operand.

v_cvt_scalef32_pk32_f16_bf6 v[0:15], s[20:25], v8
// GFX950: :[[@LINE-1]]:38: error: invalid operand for instruction

v_cvt_scalef32_pk32_f16_bf6 v[10:25], v[20:25], v8 clamp
// GFX950: :[[@LINE-1]]:52: error: invalid operand for instruction

v_cvt_scalef32_pk32_f16_bf6 v[10:25], v[20:25], v8 clamp div:2
// GFX950: :[[@LINE-1]]:58: error: not a valid operand.

v_cvt_scalef32_pk32_f16_bf6 v[10:25], v[20:25], v8 div:2
// GFX950: :[[@LINE-1]]:52: error: not a valid operand.

v_cvt_scalef32_pk32_f16_bf6 v[10:25], v[20:25], v8 mul:2
// GFX950: :[[@LINE-1]]:52: error: not a valid operand.

v_cvt_scalef32_pk32_f16_fp6 v[0:15], s[20:25], v8
// GFX950: :[[@LINE-1]]:38: error: invalid operand for instruction

v_cvt_scalef32_pk32_f16_fp6 v[10:25], v[20:25], v8 clamp
// GFX950: :[[@LINE-1]]:52: error: invalid operand for instruction

v_cvt_scalef32_pk32_f16_fp6 v[10:25], v[20:25], v8 clamp div:2
// GFX950: :[[@LINE-1]]:58: error: not a valid operand.

v_cvt_scalef32_pk32_f16_fp6 v[10:25], v[20:25], v8 div:2
// GFX950: :[[@LINE-1]]:52: error: not a valid operand.

v_cvt_scalef32_pk32_f16_fp6 v[10:25], v[20:25], v8 mul:2
// GFX950: :[[@LINE-1]]:52: error: not a valid operand.

v_cvt_scalef32_pk32_f32_bf6 v[0:31], s[32:37], v6
// GFX950: :[[@LINE-1]]:38: error: invalid operand for instruction

v_cvt_scalef32_pk32_f32_bf6 v[2:33], v[2:7], v6 clamp
// GFX950: :[[@LINE-1]]:49: error: invalid operand for instruction

v_cvt_scalef32_pk32_f32_bf6 v[2:33], v[2:7], v6 clamp div:2
// GFX950: :[[@LINE-1]]:55: error: not a valid operand.

v_cvt_scalef32_pk32_f32_bf6 v[2:33], v[2:7], v6 div:2
// GFX950: :[[@LINE-1]]:49: error: not a valid operand.

v_cvt_scalef32_pk32_f32_bf6 v[2:33], v[2:7], v6 mul:2
// GFX950: :[[@LINE-1]]:49: error: not a valid operand.

v_cvt_scalef32_pk32_f32_fp6 v[0:31], s[32:37], v6
// GFX950: :[[@LINE-1]]:38: error: invalid operand for instruction

v_cvt_scalef32_pk32_f32_fp6 v[2:33], v[2:7], v6 clamp
// GFX950: :[[@LINE-1]]:49: error: invalid operand for instruction

v_cvt_scalef32_pk32_f32_fp6 v[2:33], v[2:7], v6 clamp div:2
// GFX950: :[[@LINE-1]]:55: error: not a valid operand.

v_cvt_scalef32_pk32_f32_fp6 v[2:33], v[2:7], v6 div:2
// GFX950: :[[@LINE-1]]:49: error: not a valid operand.

v_cvt_scalef32_pk32_f32_fp6 v[2:33], v[2:7], v6 mul:2
// GFX950: :[[@LINE-1]]:49: error: not a valid operand.

v_cvt_scalef32_pk32_fp6_bf16 v[18:23], s[0:15], v16
// GFX950: :[[@LINE-1]]:40: error: invalid operand for instruction

v_cvt_scalef32_pk32_fp6_bf16 v[20:25], v[10:25], v8 clamp
// GFX950: :[[@LINE-1]]:53: error: invalid operand for instruction

v_cvt_scalef32_pk32_fp6_bf16 v[20:25], v[10:25], v8 clamp div:2
// GFX950: :[[@LINE-1]]:59: error: not a valid operand.

v_cvt_scalef32_pk32_fp6_bf16 v[20:25], v[10:25], v8 div:2
// GFX950: :[[@LINE-1]]:53: error: not a valid operand.

v_cvt_scalef32_pk32_fp6_bf16 v[20:25], v[10:25], v8 mul:2
// GFX950: :[[@LINE-1]]:53: error: not a valid operand.

v_cvt_scalef32_pk32_fp6_f16 v[18:23], s[0:15], v16
// GFX950: :[[@LINE-1]]:39: error: invalid operand for instruction

v_cvt_scalef32_pk32_fp6_f16 v[20:25], v[10:25], v8 clamp
// GFX950: :[[@LINE-1]]:52: error: invalid operand for instruction

v_cvt_scalef32_pk32_fp6_f16 v[20:25], v[10:25], v8 clamp div:2
// GFX950: :[[@LINE-1]]:58: error: not a valid operand.

v_cvt_scalef32_pk32_fp6_f16 v[20:25], v[10:25], v8 div:2
// GFX950: :[[@LINE-1]]:52: error: not a valid operand.

v_cvt_scalef32_pk32_fp6_f16 v[20:25], v[10:25], v8 mul:2
// GFX950: :[[@LINE-1]]:52: error: not a valid operand.

v_cvt_scalef32_pk_bf16_bf8 v[20:25], v[10:25], v8 clamp
// GFX950: :[[@LINE-1]]:28: error: invalid operand for instruction

v_cvt_scalef32_pk_bf16_bf8 v[20:25], v[10:25], v8 clamp div:2
// GFX950: :[[@LINE-1]]:57: error: not a valid operand.

v_cvt_scalef32_pk_bf16_bf8 v[20:25], v[10:25], v8 div:2
// GFX950: :[[@LINE-1]]:51: error: not a valid operand.

v_cvt_scalef32_pk_bf16_bf8 v[20:25], v[10:25], v8 mul:2
// GFX950: :[[@LINE-1]]:51: error: not a valid operand.

v_cvt_scalef32_pk_bf16_fp4 v1, v2, v3 clamp
// GFX950: :[[@LINE-1]]:39: error: invalid operand for instruction

v_cvt_scalef32_pk_bf16_fp4 v1, v2, v3 clamp div:2
// GFX950: :[[@LINE-1]]:45: error: not a valid operand.

v_cvt_scalef32_pk_bf16_fp4 v1, v2, v3 div:2
// GFX950: :[[@LINE-1]]:39: error: not a valid operand.

v_cvt_scalef32_pk_bf16_fp4 v1, v2, v3 mul:2
// GFX950: :[[@LINE-1]]:39: error: not a valid operand.

v_cvt_scalef32_pk_bf16_fp8 v[20:25], v[10:25], v8 clamp
// GFX950: :[[@LINE-1]]:28: error: invalid operand for instruction

v_cvt_scalef32_pk_bf16_fp8 v[20:25], v[10:25], v8 clamp div:2
// GFX950: :[[@LINE-1]]:57: error: not a valid operand.

v_cvt_scalef32_pk_bf16_fp8 v[20:25], v[10:25], v8 div:2
// GFX950: :[[@LINE-1]]:51: error: not a valid operand.

v_cvt_scalef32_pk_bf16_fp8 v[20:25], v[10:25], v8 mul:2
// GFX950: :[[@LINE-1]]:51: error: not a valid operand.

v_cvt_scalef32_pk_bf8_bf16 v1, v2, v3 clamp
// GFX950: :[[@LINE-1]]:39: error: invalid operand for instruction

v_cvt_scalef32_pk_bf8_bf16 v1, v2, v3 clamp div:2
// GFX950: :[[@LINE-1]]:45: error: not a valid operand.

v_cvt_scalef32_pk_bf8_bf16 v1, v2, v3 div:2
// GFX950: :[[@LINE-1]]:39: error: not a valid operand.

v_cvt_scalef32_pk_bf8_bf16 v1, v2, v3 mul:2
// GFX950: :[[@LINE-1]]:39: error: not a valid operand.

v_cvt_scalef32_pk_bf8_f16 v1, v2, v3 clamp
// GFX950: :[[@LINE-1]]:38: error: invalid operand for instruction

v_cvt_scalef32_pk_bf8_f16 v1, v2, v3 clamp div:2
// GFX950: :[[@LINE-1]]:44: error: not a valid operand.

v_cvt_scalef32_pk_bf8_f16 v1, v2, v3 div:2
// GFX950: :[[@LINE-1]]:38: error: not a valid operand.

v_cvt_scalef32_pk_bf8_f16 v1, v2, v3 mul:2
// GFX950: :[[@LINE-1]]:38: error: not a valid operand.

v_cvt_scalef32_pk_f16_bf8 v[20:25], v[10:25], v8 clamp
// GFX950: :[[@LINE-1]]:27: error: invalid operand for instruction

v_cvt_scalef32_pk_f16_bf8 v[20:25], v[10:25], v8 clamp div:2
// GFX950: :[[@LINE-1]]:56: error: not a valid operand.

v_cvt_scalef32_pk_f16_bf8 v[20:25], v[10:25], v8 div:2
// GFX950: :[[@LINE-1]]:50: error: not a valid operand.

v_cvt_scalef32_pk_f16_bf8 v[20:25], v[10:25], v8 mul:2
// GFX950: :[[@LINE-1]]:50: error: not a valid operand.

v_cvt_scalef32_pk_f16_fp4 v1, v2, v3 clamp
// GFX950: :[[@LINE-1]]:38: error: invalid operand for instruction

v_cvt_scalef32_pk_f16_fp4 v1, v2, v3 clamp div:2
// GFX950: :[[@LINE-1]]:44: error: not a valid operand.

v_cvt_scalef32_pk_f16_fp4 v1, v2, v3 div:2
// GFX950: :[[@LINE-1]]:38: error: not a valid operand.

v_cvt_scalef32_pk_f16_fp4 v1, v2, v3 mul:2
// GFX950: :[[@LINE-1]]:38: error: not a valid operand.

v_cvt_scalef32_pk_f16_fp8 v[20:25], v[10:25], v8 clamp
// GFX950: :[[@LINE-1]]:27: error: invalid operand for instruction

v_cvt_scalef32_pk_f16_fp8 v[20:25], v[10:25], v8 clamp div:2
// GFX950: :[[@LINE-1]]:56: error: not a valid operand.

v_cvt_scalef32_pk_f16_fp8 v[20:25], v[10:25], v8 div:2
// GFX950: :[[@LINE-1]]:50: error: not a valid operand.

v_cvt_scalef32_pk_f16_fp8 v[20:25], v[10:25], v8 mul:2
// GFX950: :[[@LINE-1]]:50: error: not a valid operand.

v_cvt_scalef32_pk_f32_fp4 v[2:3], v2, v3 clamp
// GFX950: :[[@LINE-1]]:42: error: invalid operand for instruction

v_cvt_scalef32_pk_f32_fp4 v[2:3], v2, v3 clamp div:2
// GFX950: :[[@LINE-1]]:48: error: not a valid operand.

v_cvt_scalef32_pk_f32_fp4 v[2:3], v2, v3 div:2
// GFX950: :[[@LINE-1]]:42: error: not a valid operand.

v_cvt_scalef32_pk_f32_fp4 v[2:3], v2, v3 mul:2
// GFX950: :[[@LINE-1]]:42: error: not a valid operand.

v_cvt_scalef32_pk_fp4_bf16 v1, v2, v3 clamp
// GFX950: :[[@LINE-1]]:39: error: invalid operand for instruction

v_cvt_scalef32_pk_fp4_bf16 v1, v2, v3 clamp div:2
// GFX950: :[[@LINE-1]]:45: error: not a valid operand.

v_cvt_scalef32_pk_fp4_bf16 v1, v2, v3 div:2
// GFX950: :[[@LINE-1]]:39: error: not a valid operand.

v_cvt_scalef32_pk_fp4_bf16 v1, v2, v3 mul:2
// GFX950: :[[@LINE-1]]:39: error: not a valid operand.

v_cvt_scalef32_pk_fp4_f16 v1, v2, v3 clamp
// GFX950: :[[@LINE-1]]:38: error: invalid operand for instruction

v_cvt_scalef32_pk_fp4_f16 v1, v2, v3 clamp div:2
// GFX950: :[[@LINE-1]]:44: error: not a valid operand.

v_cvt_scalef32_pk_fp4_f16 v1, v2, v3 div:2
// GFX950: :[[@LINE-1]]:38: error: not a valid operand.

v_cvt_scalef32_pk_fp4_f16 v1, v2, v3 mul:2
// GFX950: :[[@LINE-1]]:38: error: not a valid operand.

v_cvt_scalef32_pk_fp4_f32 v1, v1, v2, v3 clamp
// GFX950: :[[@LINE-1]]:42: error: invalid operand for instruction

v_cvt_scalef32_pk_fp4_f32 v1, v1, v2, v3 clamp div:2
// GFX950: :[[@LINE-1]]:48: error: not a valid operand.

v_cvt_scalef32_pk_fp4_f32 v1, v1, v2, v3 div:2
// GFX950: :[[@LINE-1]]:42: error: not a valid operand.

v_cvt_scalef32_pk_fp4_f32 v1, v1, v2, v3 mul:2
// GFX950: :[[@LINE-1]]:42: error: not a valid operand.

v_cvt_scalef32_pk_fp8_bf16 v1, v2, v3 clamp
// GFX950: :[[@LINE-1]]:39: error: invalid operand for instruction

v_cvt_scalef32_pk_fp8_bf16 v1, v2, v3 clamp div:2
// GFX950: :[[@LINE-1]]:45: error: not a valid operand.

v_cvt_scalef32_pk_fp8_bf16 v1, v2, v3 div:2
// GFX950: :[[@LINE-1]]:39: error: not a valid operand.

v_cvt_scalef32_pk_fp8_bf16 v1, v2, v3 mul:2
// GFX950: :[[@LINE-1]]:39: error: not a valid operand.

v_cvt_scalef32_pk_fp8_f16 v1, v2, v3 clamp
// GFX950: :[[@LINE-1]]:38: error: invalid operand for instruction

v_cvt_scalef32_pk_fp8_f16 v1, v2, v3 clamp div:2
// GFX950: :[[@LINE-1]]:44: error: not a valid operand.

v_cvt_scalef32_pk_fp8_f16 v1, v2, v3 div:2
// GFX950: :[[@LINE-1]]:38: error: not a valid operand.

v_cvt_scalef32_pk_fp8_f16 v1, v2, v3 mul:2
// GFX950: :[[@LINE-1]]:38: error: not a valid operand.

v_cvt_scalef32_sr_bf8_bf16 v0, v1, v2, v3 clamp
// GFX950: :[[@LINE-1]]:43: error: invalid operand for instruction

v_cvt_scalef32_sr_bf8_f16 v0, v1, v2, v3 clamp
// GFX950: :[[@LINE-1]]:42: error: invalid operand for instruction

v_cvt_scalef32_sr_bf8_f32 v0, v1, v2, v3 clamp
// GFX950: :[[@LINE-1]]:42: error: invalid operand for instruction

v_cvt_scalef32_sr_fp8_bf16 v0, v1, v2, v3 clamp
// GFX950: :[[@LINE-1]]:43: error: invalid operand for instruction

v_cvt_scalef32_sr_fp8_f16 v0, v1, v2, v3 clamp
// GFX950: :[[@LINE-1]]:42: error: invalid operand for instruction

v_cvt_scalef32_sr_fp8_f32 v0, v1, v2, v3 clamp
// GFX950: :[[@LINE-1]]:42: error: invalid operand for instruction

v_cvt_scalef32_sr_pk32_bf6_bf16 v[0:5], v[0:15], v16, v17 clamp
// GFX950: :[[@LINE-1]]:59: error: invalid operand for instruction

v_cvt_scalef32_sr_pk32_bf6_bf16 v[20:25], s[0:15], v16, v17
// GFX950: :[[@LINE-1]]:43: error: invalid operand for instruction

v_cvt_scalef32_sr_pk32_bf6_f16 v[0:5], v[6:21], v22, v23 clamp
// GFX950: :[[@LINE-1]]:58: error: invalid operand for instruction

v_cvt_scalef32_sr_pk32_bf6_f16 v[20:25], s[0:15], v16, v17
// GFX950: :[[@LINE-1]]:42: error: invalid operand for instruction

v_cvt_scalef32_sr_pk32_bf6_f32 v[0:5], v[6:37], v38, v39 clamp
// GFX950: :[[@LINE-1]]:58: error: invalid operand for instruction

v_cvt_scalef32_sr_pk32_bf6_f32 v[36:41], s[0:31], v32, v33
// GFX950: :[[@LINE-1]]:42: error: invalid or unsupported register size

v_cvt_scalef32_sr_pk32_fp6_bf16 v[0:5], v[6:21], v22, v23 clamp
// GFX950: :[[@LINE-1]]:59: error: invalid operand for instruction

v_cvt_scalef32_sr_pk32_fp6_bf16 v[20:25], s[0:15], v16, v17
// GFX950: :[[@LINE-1]]:43: error: invalid operand for instruction

v_cvt_scalef32_sr_pk32_fp6_f16 v[0:5], v[6:21], v22, v23 clamp
// GFX950: :[[@LINE-1]]:58: error: invalid operand for instruction

v_cvt_scalef32_sr_pk32_fp6_f16 v[20:25], s[0:15], v16, v17
// GFX950: :[[@LINE-1]]:42: error: invalid operand for instruction

v_cvt_scalef32_sr_pk32_fp6_f32 v[0:5], v[6:37], v38, v39 clamp
// GFX950: :[[@LINE-1]]:58: error: invalid operand for instruction

v_cvt_scalef32_sr_pk32_fp6_f32 v[36:41], s[0:31], v32, v33
// GFX950: :[[@LINE-1]]:42: error: invalid or unsupported register size

v_cvt_scalef32_sr_pk_fp4_f32 v0, s[2:3], v4, v5
// GFX950: :[[@LINE-1]]:34: error: invalid operand for instruction

v_cvt_sr_bf16_f32 v1, v2, v3 clamp
// GFX950: :[[@LINE-1]]:30: error: invalid operand for instruction

v_cvt_sr_f16_f32 v1, v2, v3 clamp
// GFX950: :[[@LINE-1]]:29: error: invalid operand for instruction

v_maximum3_f16 v0, v1, v2, v3
// GFX950: :[[@LINE-1]]:1: error: instruction not supported on this GPU (gfx950): v_maximum3_f16

v_maximum3_f32 v0, s1, s2, v3
// GFX950: :[[@LINE-1]]:24: error: invalid operand (violates constant bus restrictions)

v_maximum3_f32 v0, s1, v3, s2
// GFX950: :[[@LINE-1]]:28: error: invalid operand (violates constant bus restrictions)
	;; [unrolled: 3-line block ×3, first 2 shown]

v_maximum_f16 v0, v1, v2
// GFX950: :[[@LINE-1]]:1: error: instruction not supported on this GPU (gfx950): v_maximum_f16

v_maximum_f32 v0, v1, v2
// GFX950: :[[@LINE-1]]:1: error: instruction not supported on this GPU (gfx950): v_maximum_f32

v_minimum3_f16 v0, v1, v2, v3
// GFX950: :[[@LINE-1]]:1: error: instruction not supported on this GPU (gfx950): v_minimum3_f16

v_minimum3_f32 v0, s1, s2, v3
// GFX950: :[[@LINE-1]]:24: error: invalid operand (violates constant bus restrictions)

v_minimum3_f32 v0, v1, v2, 0xdeadbeef
// GFX950: :[[@LINE-1]]:28: error: literal operands are not supported

v_minimum_f16 v0, v1, v2
// GFX950: :[[@LINE-1]]:1: error: instruction not supported on this GPU (gfx950): v_minimum_f16

v_minimum_f32 v0, v1, v2
// GFX950: :[[@LINE-1]]:1: error: instruction not supported on this GPU (gfx950): v_minimum_f32

v_permlane16_swap_b32 s0, v0
// GFX950: :[[@LINE-1]]:23: error: invalid operand for instruction

v_permlane16_swap_b32 v0, m0
// GFX950: :[[@LINE-1]]:27: error: invalid operand for instruction
	;; [unrolled: 3-line block ×3, first 2 shown]

v_permlane16_swap_b32 v0, vcc
// GFX950: :[[@LINE-1]]:27: error: invalid operand for instruction

v_permlane16_swap_b32 v0, vcc_lo
// GFX950: :[[@LINE-1]]:27: error: invalid operand for instruction

v_permlane16_swap_b32_e32 v1, v2 bound_ctrl:0
// GFX950: :[[@LINE-1]]:34: error: invalid operand for instruction

v_permlane16_swap_b32_e32 v1, v2 bound_ctrl:1
// GFX950: :[[@LINE-1]]:34: error: invalid operand for instruction

v_permlane16_swap_b32_e32 v1, v2 bound_ctrl:1 fi:1
// GFX950: :[[@LINE-1]]:34: error: invalid operand for instruction

v_permlane16_swap_b32_e32 v1, v2 fi:0
// GFX950: :[[@LINE-1]]:34: error: invalid operand for instruction

v_permlane16_swap_b32_e32 v1, v2 fi:1
// GFX950: :[[@LINE-1]]:34: error: invalid operand for instruction

v_pk_maximum3_f16 v0, s1, s2, v3
// GFX950: :[[@LINE-1]]:27: error: invalid operand (violates constant bus restrictions)

v_pk_minimum3_f16 v0, s1, s2, v3
// GFX950: :[[@LINE-1]]:27: error: invalid operand (violates constant bus restrictions)
